;; amdgpu-corpus repo=ROCm/rocFFT kind=compiled arch=gfx1201 opt=O3
	.text
	.amdgcn_target "amdgcn-amd-amdhsa--gfx1201"
	.amdhsa_code_object_version 6
	.protected	fft_rtc_back_len125_factors_5_5_5_wgs_250_tpt_25_sp_op_CI_CI_sbrc_erc_z_xy_aligned_dirReg ; -- Begin function fft_rtc_back_len125_factors_5_5_5_wgs_250_tpt_25_sp_op_CI_CI_sbrc_erc_z_xy_aligned_dirReg
	.globl	fft_rtc_back_len125_factors_5_5_5_wgs_250_tpt_25_sp_op_CI_CI_sbrc_erc_z_xy_aligned_dirReg
	.p2align	8
	.type	fft_rtc_back_len125_factors_5_5_5_wgs_250_tpt_25_sp_op_CI_CI_sbrc_erc_z_xy_aligned_dirReg,@function
fft_rtc_back_len125_factors_5_5_5_wgs_250_tpt_25_sp_op_CI_CI_sbrc_erc_z_xy_aligned_dirReg: ; @fft_rtc_back_len125_factors_5_5_5_wgs_250_tpt_25_sp_op_CI_CI_sbrc_erc_z_xy_aligned_dirReg
; %bb.0:
	s_clause 0x1
	s_load_b256 s[4:11], s[0:1], 0x0
	s_load_b64 s[20:21], s[0:1], 0x20
	s_wait_kmcnt 0x0
	s_load_b128 s[12:15], s[8:9], 0x8
	s_wait_kmcnt 0x0
	s_add_co_i32 s2, s12, -1
	s_delay_alu instid0(SALU_CYCLE_1) | instskip(NEXT) | instid1(SALU_CYCLE_1)
	s_mul_hi_u32 s2, s2, 0xcccccccd
	s_lshr_b32 s2, s2, 3
	s_delay_alu instid0(SALU_CYCLE_1) | instskip(NEXT) | instid1(SALU_CYCLE_1)
	s_add_co_i32 s3, s2, 1
	s_mul_i32 s8, s3, s14
	s_cvt_f32_u32 s12, s3
	s_cvt_f32_u32 s9, s8
	s_sub_co_i32 s13, 0, s8
	s_delay_alu instid0(SALU_CYCLE_2) | instskip(NEXT) | instid1(TRANS32_DEP_1)
	v_rcp_iflag_f32_e32 v1, s9
	v_readfirstlane_b32 s9, v1
	v_mul_u32_u24_e32 v1, 0x20d, v0
	s_delay_alu instid0(VALU_DEP_2) | instskip(NEXT) | instid1(VALU_DEP_1)
	s_mul_f32 s9, s9, 0x4f7ffffe
	v_lshrrev_b32_e32 v15, 16, v1
	v_rcp_iflag_f32_e32 v1, s12
	s_wait_alu 0xfffe
	s_cvt_u32_f32 s9, s9
	s_delay_alu instid0(VALU_DEP_1) | instskip(SKIP_1) | instid1(SALU_CYCLE_1)
	v_mul_lo_u16 v2, 0x7d, v15
	s_wait_alu 0xfffe
	s_mul_i32 s13, s13, s9
	s_wait_alu 0xfffe
	s_mul_hi_u32 s12, s9, s13
	v_sub_nc_u16 v2, v0, v2
	s_wait_alu 0xfffe
	s_add_co_i32 s9, s9, s12
	v_readfirstlane_b32 s13, v1
	s_wait_alu 0xfffe
	s_mul_hi_u32 s9, ttmp9, s9
	s_wait_alu 0xfffe
	s_mul_i32 s12, s9, s8
	s_add_co_i32 s14, s9, 1
	s_wait_alu 0xfffe
	s_sub_co_i32 s12, ttmp9, s12
	s_mul_f32 s13, s13, 0x4f7ffffe
	s_wait_alu 0xfffe
	s_sub_co_i32 s15, s12, s8
	s_cmp_ge_u32 s12, s8
	v_and_b32_e32 v16, 0xffff, v2
	s_cselect_b32 s9, s14, s9
	s_cselect_b32 s12, s15, s12
	s_wait_alu 0xfffe
	s_add_co_i32 s14, s9, 1
	s_cmp_ge_u32 s12, s8
	s_cvt_u32_f32 s17, s13
	s_cselect_b32 s16, s14, s9
	s_not_b32 s2, s2
	s_mul_i32 s8, s16, s8
	s_mul_i32 s2, s2, s17
	s_wait_alu 0xfffe
	s_sub_co_i32 s8, ttmp9, s8
	s_mul_hi_u32 s2, s17, s2
	s_load_b128 s[12:15], s[10:11], 0x0
	s_add_co_i32 s17, s17, s2
	s_delay_alu instid0(SALU_CYCLE_1)
	s_mul_hi_u32 s2, s8, s17
	s_mul_hi_u32 s17, ttmp9, s17
	s_mul_i32 s9, s2, s3
	s_mul_i32 s17, s17, s3
	s_wait_alu 0xfffe
	s_sub_co_i32 s8, s8, s9
	s_add_co_i32 s9, s2, 1
	s_wait_kmcnt 0x0
	s_wait_alu 0xfffe
	s_sub_co_i32 s15, s8, s3
	s_cmp_ge_u32 s8, s3
	s_cselect_b32 s2, s9, s2
	s_cselect_b32 s8, s15, s8
	s_add_co_i32 s9, s2, 1
	s_wait_alu 0xfffe
	s_cmp_ge_u32 s8, s3
	s_cselect_b32 s15, s9, s2
	s_sub_co_i32 s2, ttmp9, s17
	s_delay_alu instid0(SALU_CYCLE_1)
	s_sub_co_i32 s8, s2, s3
	s_cmp_ge_u32 s2, s3
	v_mad_co_u64_u32 v[3:4], null, s12, v16, 0
	s_wait_alu 0xfffe
	s_cselect_b32 s2, s8, s2
	s_load_b32 s12, s[10:11], 0x10
	s_sub_co_i32 s8, s2, s3
	s_cmp_ge_u32 s2, s3
	v_mul_lo_u32 v1, s14, v15
	s_wait_alu 0xfffe
	s_cselect_b32 s22, s8, s2
	s_lshl_b64 s[18:19], s[6:7], 3
	v_mad_co_u64_u32 v[4:5], null, s13, v16, v[4:5]
	s_add_nc_u64 s[2:3], s[10:11], s[18:19]
	s_lshl_b32 s7, s14, 1
	s_load_b64 s[2:3], s[2:3], 0x0
	s_load_b128 s[8:11], s[0:1], 0x58
	v_mov_b32_e32 v2, 0
	s_mov_b32 s13, 0
	s_mul_i32 s6, s22, 10
	s_wait_alu 0xfffe
	s_mov_b32 s17, s13
	s_mul_i32 s1, s6, s14
	v_lshlrev_b64_e32 v[5:6], 3, v[1:2]
	v_add_nc_u32_e32 v1, s7, v1
	v_lshlrev_b64_e32 v[3:4], 3, v[3:4]
	s_wait_kmcnt 0x0
	s_mul_i32 s0, s15, s12
	v_mul_u32_u24_e32 v15, 0x3f0, v15
	s_add_co_i32 s12, s1, s0
	v_lshlrev_b64_e32 v[7:8], 3, v[1:2]
	v_add_nc_u32_e32 v1, s7, v1
	v_lshlrev_b32_e32 v16, 3, v16
	s_delay_alu instid0(VALU_DEP_2)
	v_lshlrev_b64_e32 v[9:10], 3, v[1:2]
	s_mul_u64 s[0:1], s[2:3], s[16:17]
	s_wait_alu 0xfffe
	s_lshl_b64 s[2:3], s[12:13], 3
	s_lshl_b64 s[0:1], s[0:1], 3
	v_add_nc_u32_e32 v1, s7, v1
	s_add_nc_u64 s[0:1], s[8:9], s[0:1]
	v_add3_u32 v15, 0, v15, v16
	s_add_nc_u64 s[0:1], s[0:1], s[2:3]
	s_add_nc_u64 s[8:9], s[20:21], s[18:19]
	v_add_co_u32 v13, vcc_lo, s0, v3
	v_add_co_ci_u32_e32 v14, vcc_lo, s1, v4, vcc_lo
	v_lshlrev_b64_e32 v[11:12], 3, v[1:2]
	s_delay_alu instid0(VALU_DEP_3)
	v_add_co_u32 v5, vcc_lo, v13, v5
	v_add_nc_u32_e32 v1, s7, v1
	s_wait_alu 0xfffd
	v_add_co_ci_u32_e32 v6, vcc_lo, v14, v6, vcc_lo
	v_add_co_u32 v7, vcc_lo, v13, v7
	s_wait_alu 0xfffd
	v_add_co_ci_u32_e32 v8, vcc_lo, v14, v8, vcc_lo
	v_lshlrev_b64_e32 v[3:4], 3, v[1:2]
	v_add_co_u32 v9, vcc_lo, v13, v9
	s_wait_alu 0xfffd
	v_add_co_ci_u32_e32 v10, vcc_lo, v14, v10, vcc_lo
	v_add_co_u32 v11, vcc_lo, v13, v11
	s_wait_alu 0xfffd
	v_add_co_ci_u32_e32 v12, vcc_lo, v14, v12, vcc_lo
	;; [unrolled: 3-line block ×3, first 2 shown]
	s_clause 0x4
	global_load_b64 v[5:6], v[5:6], off
	global_load_b64 v[7:8], v[7:8], off
	;; [unrolled: 1-line block ×5, first 2 shown]
	v_mul_u32_u24_e32 v1, 0xa3e, v0
	s_clause 0x1
	s_load_b128 s[0:3], s[20:21], 0x0
	s_load_b64 s[8:9], s[8:9], 0x0
	s_wait_kmcnt 0x0
	s_load_b32 s3, s[20:21], 0x10
	v_cmp_gt_u32_e32 vcc_lo, 10, v0
	v_lshrrev_b32_e32 v1, 16, v1
	s_mov_b32 s7, s13
	s_mov_b32 s19, s13
	s_delay_alu instid0(VALU_DEP_1) | instskip(SKIP_1) | instid1(VALU_DEP_2)
	v_add_nc_u32_e32 v3, s6, v1
	v_mul_lo_u16 v1, v1, 25
	v_mul_hi_u32 v4, 0xcccccccd, v3
	s_delay_alu instid0(VALU_DEP_2) | instskip(NEXT) | instid1(VALU_DEP_1)
	v_sub_nc_u16 v1, v0, v1
	v_and_b32_e32 v17, 0xff, v1
	v_and_b32_e32 v18, 0xffff, v1
	s_delay_alu instid0(VALU_DEP_4) | instskip(SKIP_1) | instid1(VALU_DEP_2)
	v_lshrrev_b32_e32 v4, 3, v4
	s_mul_i32 s18, s15, s2
	v_lshlrev_b32_e32 v16, 3, v18
	s_delay_alu instid0(VALU_DEP_2) | instskip(NEXT) | instid1(VALU_DEP_1)
	v_mul_lo_u32 v4, v4, 10
	v_sub_nc_u32_e32 v3, v3, v4
	v_mul_lo_u16 v4, 0xcd, v17
	v_add_nc_u32_e32 v17, 0xfc0, v15
	s_wait_loadcnt 0x3
	ds_store_2addr_b64 v15, v[5:6], v[7:8] offset1:252
	s_wait_loadcnt 0x1
	ds_store_2addr_b64 v17, v[9:10], v[11:12] offset1:252
	s_wait_loadcnt 0x0
	ds_store_b64 v15, v[13:14] offset:8064
	v_mul_u32_u24_e32 v3, 0x7e, v3
	v_lshrrev_b16 v21, 10, v4
	global_wb scope:SCOPE_SE
	s_wait_dscnt 0x0
	s_wait_kmcnt 0x0
	s_barrier_signal -1
	s_barrier_wait -1
	v_lshlrev_b32_e32 v23, 3, v3
	global_inv scope:SCOPE_SE
	v_mul_lo_u16 v19, v21, 5
	v_add3_u32 v4, 0, v23, v16
	v_add3_u32 v3, 0, v16, v23
	ds_load_b64 v[13:14], v4
	ds_load_2addr_b64 v[5:8], v3 offset0:25 offset1:50
	ds_load_2addr_b64 v[9:12], v3 offset0:75 offset1:100
	v_sub_nc_u16 v1, v1, v19
	global_wb scope:SCOPE_SE
	s_wait_dscnt 0x0
	s_barrier_signal -1
	s_barrier_wait -1
	global_inv scope:SCOPE_SE
	v_and_b32_e32 v1, 0xff, v1
	v_dual_add_f32 v17, v13, v5 :: v_dual_sub_f32 v34, v12, v10
	v_dual_sub_f32 v19, v6, v12 :: v_dual_lshlrev_b32 v24, 5, v18
	v_dual_sub_f32 v31, v5, v11 :: v_dual_add_f32 v18, v7, v9
	v_dual_sub_f32 v22, v5, v7 :: v_dual_sub_f32 v25, v11, v9
	s_delay_alu instid0(VALU_DEP_3)
	v_dual_add_f32 v29, v14, v6 :: v_dual_add_nc_u32 v16, v3, v24
	v_dual_sub_f32 v27, v7, v5 :: v_dual_sub_f32 v28, v9, v11
	v_dual_add_f32 v30, v8, v10 :: v_dual_lshlrev_b32 v15, 5, v1
	v_sub_f32_e32 v36, v8, v6
	v_sub_f32_e32 v20, v8, v10
	v_add_f32_e32 v26, v5, v11
	v_dual_sub_f32 v32, v7, v9 :: v_dual_add_f32 v35, v6, v12
	v_sub_f32_e32 v33, v6, v8
	v_add_f32_e32 v7, v17, v7
	v_fma_f32 v5, -0.5, v18, v13
	v_add_f32_e32 v18, v27, v28
	v_sub_f32_e32 v37, v10, v12
	v_dual_add_f32 v17, v22, v25 :: v_dual_add_f32 v8, v29, v8
	v_fma_f32 v6, -0.5, v30, v14
	v_fma_f32 v13, -0.5, v26, v13
	v_fmac_f32_e32 v14, -0.5, v35
	v_add_f32_e32 v26, v7, v9
	v_add_f32_e32 v25, v36, v37
	v_dual_add_f32 v27, v8, v10 :: v_dual_fmamk_f32 v8, v31, 0x3f737871, v6
	v_dual_fmamk_f32 v7, v19, 0xbf737871, v5 :: v_dual_fmac_f32 v6, 0xbf737871, v31
	v_fmac_f32_e32 v5, 0x3f737871, v19
	v_fmamk_f32 v10, v32, 0xbf737871, v14
	v_fmac_f32_e32 v14, 0x3f737871, v32
	v_fmac_f32_e32 v8, 0x3f167918, v32
	v_dual_fmamk_f32 v9, v20, 0x3f737871, v13 :: v_dual_add_f32 v12, v27, v12
	v_dual_fmac_f32 v13, 0xbf737871, v20 :: v_dual_add_f32 v22, v33, v34
	s_delay_alu instid0(VALU_DEP_4) | instskip(SKIP_1) | instid1(VALU_DEP_4)
	v_dual_fmac_f32 v7, 0xbf167918, v20 :: v_dual_fmac_f32 v14, 0xbf167918, v31
	v_dual_fmac_f32 v5, 0x3f167918, v20 :: v_dual_fmac_f32 v10, 0x3f167918, v31
	v_fmac_f32_e32 v9, 0xbf167918, v19
	s_delay_alu instid0(VALU_DEP_4) | instskip(SKIP_2) | instid1(VALU_DEP_4)
	v_fmac_f32_e32 v13, 0x3f167918, v19
	v_dual_add_f32 v11, v26, v11 :: v_dual_fmac_f32 v6, 0xbf167918, v32
	v_dual_fmac_f32 v7, 0x3e9e377a, v17 :: v_dual_fmac_f32 v8, 0x3e9e377a, v22
	v_dual_fmac_f32 v9, 0x3e9e377a, v18 :: v_dual_fmac_f32 v10, 0x3e9e377a, v25
	s_delay_alu instid0(VALU_DEP_4) | instskip(NEXT) | instid1(VALU_DEP_4)
	v_dual_fmac_f32 v13, 0x3e9e377a, v18 :: v_dual_fmac_f32 v14, 0x3e9e377a, v25
	v_dual_fmac_f32 v5, 0x3e9e377a, v17 :: v_dual_fmac_f32 v6, 0x3e9e377a, v22
	ds_store_2addr_b64 v16, v[11:12], v[7:8] offset1:1
	ds_store_2addr_b64 v16, v[9:10], v[13:14] offset0:2 offset1:3
	ds_store_b64 v16, v[5:6] offset:32
	global_wb scope:SCOPE_SE
	s_wait_dscnt 0x0
	s_barrier_signal -1
	s_barrier_wait -1
	global_inv scope:SCOPE_SE
	s_clause 0x1
	global_load_b128 v[5:8], v15, s[4:5]
	global_load_b128 v[9:12], v15, s[4:5] offset:16
	ds_load_2addr_b64 v[13:16], v3 offset0:25 offset1:50
	ds_load_2addr_b64 v[17:20], v3 offset0:75 offset1:100
	v_and_b32_e32 v21, 0xffff, v21
	v_lshlrev_b32_e32 v1, 3, v1
	s_delay_alu instid0(VALU_DEP_2)
	v_mad_u32_u24 v25, 0xc8, v21, 0
	ds_load_2addr_b32 v[21:22], v4 offset1:1
	global_wb scope:SCOPE_SE
	s_wait_loadcnt_dscnt 0x0
	s_barrier_signal -1
	s_barrier_wait -1
	global_inv scope:SCOPE_SE
	v_mul_f32_e32 v26, v10, v18
	v_dual_mul_f32 v10, v10, v17 :: v_dual_mul_f32 v27, v12, v20
	v_mul_f32_e32 v12, v12, v19
	v_add3_u32 v1, v25, v1, v23
	s_delay_alu instid0(VALU_DEP_4) | instskip(SKIP_1) | instid1(VALU_DEP_2)
	v_dual_mul_f32 v23, v6, v14 :: v_dual_fmac_f32 v26, v9, v17
	v_dual_mul_f32 v6, v6, v13 :: v_dual_mul_f32 v25, v8, v16
	v_dual_mul_f32 v8, v8, v15 :: v_dual_fmac_f32 v23, v5, v13
	v_fma_f32 v12, v11, v20, -v12
	s_delay_alu instid0(VALU_DEP_3) | instskip(NEXT) | instid1(VALU_DEP_4)
	v_fma_f32 v5, v5, v14, -v6
	v_fmac_f32_e32 v25, v7, v15
	s_delay_alu instid0(VALU_DEP_4) | instskip(SKIP_1) | instid1(VALU_DEP_4)
	v_fma_f32 v6, v7, v16, -v8
	v_fma_f32 v8, v9, v18, -v10
	v_add_f32_e32 v18, v22, v5
	v_add_f32_e32 v30, v5, v12
	s_delay_alu instid0(VALU_DEP_4) | instskip(NEXT) | instid1(VALU_DEP_4)
	v_sub_f32_e32 v28, v5, v6
	v_sub_f32_e32 v14, v6, v8
	;; [unrolled: 1-line block ×3, first 2 shown]
	v_fmac_f32_e32 v27, v11, v19
	v_dual_add_f32 v7, v23, v21 :: v_dual_sub_f32 v16, v25, v23
	v_add_f32_e32 v19, v6, v8
	s_delay_alu instid0(VALU_DEP_3)
	v_dual_add_f32 v9, v25, v26 :: v_dual_sub_f32 v20, v23, v27
	v_sub_f32_e32 v11, v27, v26
	v_sub_f32_e32 v13, v5, v12
	v_dual_add_f32 v15, v23, v27 :: v_dual_sub_f32 v32, v8, v12
	v_sub_f32_e32 v23, v25, v26
	v_sub_f32_e32 v31, v6, v5
	v_add_f32_e32 v7, v7, v25
	v_add_f32_e32 v25, v10, v11
	;; [unrolled: 1-line block ×3, first 2 shown]
	v_fma_f32 v6, -0.5, v19, v22
	v_fmac_f32_e32 v22, -0.5, v30
	v_fma_f32 v5, -0.5, v9, v21
	v_sub_f32_e32 v29, v12, v8
	v_fma_f32 v21, -0.5, v15, v21
	v_add_f32_e32 v18, v10, v8
	v_dual_fmamk_f32 v10, v23, 0xbf737871, v22 :: v_dual_sub_f32 v17, v26, v27
	v_fmamk_f32 v8, v20, 0x3f737871, v6
	v_dual_fmac_f32 v6, 0xbf737871, v20 :: v_dual_add_f32 v11, v7, v26
	s_delay_alu instid0(VALU_DEP_4) | instskip(NEXT) | instid1(VALU_DEP_4)
	v_dual_add_f32 v12, v18, v12 :: v_dual_fmamk_f32 v7, v13, 0xbf737871, v5
	v_dual_add_f32 v15, v16, v17 :: v_dual_fmac_f32 v22, 0x3f737871, v23
	v_fmamk_f32 v9, v14, 0x3f737871, v21
	v_fmac_f32_e32 v21, 0xbf737871, v14
	v_fmac_f32_e32 v5, 0x3f737871, v13
	v_dual_add_f32 v16, v28, v29 :: v_dual_add_f32 v17, v31, v32
	v_fmac_f32_e32 v8, 0x3f167918, v23
	v_dual_fmac_f32 v7, 0xbf167918, v14 :: v_dual_fmac_f32 v6, 0xbf167918, v23
	v_dual_add_f32 v11, v11, v27 :: v_dual_fmac_f32 v22, 0xbf167918, v20
	v_fmac_f32_e32 v9, 0xbf167918, v13
	v_dual_fmac_f32 v21, 0x3f167918, v13 :: v_dual_fmac_f32 v10, 0x3f167918, v20
	v_fmac_f32_e32 v5, 0x3f167918, v14
	v_dual_fmac_f32 v7, 0x3e9e377a, v25 :: v_dual_fmac_f32 v8, 0x3e9e377a, v16
	s_delay_alu instid0(VALU_DEP_3) | instskip(NEXT) | instid1(VALU_DEP_4)
	v_dual_fmac_f32 v9, 0x3e9e377a, v15 :: v_dual_fmac_f32 v10, 0x3e9e377a, v17
	v_dual_fmac_f32 v21, 0x3e9e377a, v15 :: v_dual_fmac_f32 v22, 0x3e9e377a, v17
	s_delay_alu instid0(VALU_DEP_4)
	v_dual_fmac_f32 v5, 0x3e9e377a, v25 :: v_dual_fmac_f32 v6, 0x3e9e377a, v16
	ds_store_2addr_b64 v1, v[11:12], v[7:8] offset1:5
	ds_store_2addr_b64 v1, v[9:10], v[21:22] offset0:10 offset1:15
	ds_store_b64 v1, v[5:6] offset:160
	global_wb scope:SCOPE_SE
	s_wait_dscnt 0x0
	s_barrier_signal -1
	s_barrier_wait -1
	global_inv scope:SCOPE_SE
	s_clause 0x1
	global_load_b128 v[7:10], v24, s[4:5] offset:160
	global_load_b128 v[11:14], v24, s[4:5] offset:176
	v_mul_u32_u24_e32 v1, 0x199a, v0
	ds_load_2addr_b64 v[19:22], v3 offset0:75 offset1:100
	ds_load_2addr_b32 v[29:30], v4 offset1:1
	s_mul_i32 s4, s3, 25
	v_lshrrev_b32_e32 v17, 16, v1
	s_delay_alu instid0(VALU_DEP_1) | instskip(NEXT) | instid1(VALU_DEP_1)
	v_mul_lo_u16 v1, v17, 10
	v_sub_nc_u16 v1, v0, v1
	s_delay_alu instid0(VALU_DEP_1) | instskip(SKIP_3) | instid1(VALU_DEP_3)
	v_and_b32_e32 v15, 0xffff, v1
	v_mul_lo_u16 v16, 0x7e, v1
	s_wait_loadcnt_dscnt 0x1
	v_mul_f32_e32 v34, v14, v22
	v_mad_co_u64_u32 v[5:6], null, s0, v15, 0
	v_dual_mul_f32 v33, v12, v20 :: v_dual_mul_f32 v14, v14, v21
	v_mul_f32_e32 v12, v12, v19
	s_delay_alu instid0(VALU_DEP_2) | instskip(NEXT) | instid1(VALU_DEP_4)
	v_fmac_f32_e32 v33, v11, v19
	v_dual_mov_b32 v1, v6 :: v_dual_and_b32 v6, 0xffff, v16
	s_delay_alu instid0(VALU_DEP_4) | instskip(NEXT) | instid1(VALU_DEP_2)
	v_fma_f32 v14, v13, v22, -v14
	v_mad_co_u64_u32 v[15:16], null, s1, v15, v[1:2]
	v_lshlrev_b32_e32 v1, 3, v17
	s_delay_alu instid0(VALU_DEP_4)
	v_lshlrev_b32_e32 v16, 3, v6
	s_wait_alu 0xfffe
	s_mul_u64 s[0:1], s[0:1], s[6:7]
	s_mul_u64 s[6:7], s[8:9], s[16:17]
	s_wait_alu 0xfffe
	s_lshl_b64 s[0:1], s[0:1], 3
	v_mov_b32_e32 v6, v15
	v_add3_u32 v31, 0, v16, v1
	v_add3_u32 v0, 0, v1, v16
	v_mul_lo_u32 v1, s3, v17
	ds_load_2addr_b64 v[15:18], v3 offset0:25 offset1:50
	v_lshlrev_b64_e32 v[5:6], 3, v[5:6]
	s_lshl_b64 s[2:3], s[18:19], 3
	s_wait_alu 0xfffe
	s_add_nc_u64 s[0:1], s[10:11], s[0:1]
	global_wb scope:SCOPE_SE
	s_wait_dscnt 0x0
	s_wait_alu 0xfffe
	s_add_nc_u64 s[0:1], s[0:1], s[2:3]
	s_lshl_b64 s[2:3], s[6:7], 3
	v_lshlrev_b64_e32 v[23:24], 3, v[1:2]
	s_wait_alu 0xfffe
	s_add_nc_u64 s[0:1], s[0:1], s[2:3]
	s_barrier_signal -1
	s_wait_alu 0xfffe
	v_add_co_u32 v5, s0, s0, v5
	s_barrier_wait -1
	global_inv scope:SCOPE_SE
	s_wait_alu 0xf1ff
	v_add_co_ci_u32_e64 v6, s0, s1, v6, s0
	v_add_co_u32 v23, s0, v5, v23
	s_wait_alu 0xf1ff
	s_delay_alu instid0(VALU_DEP_2) | instskip(SKIP_4) | instid1(VALU_DEP_4)
	v_add_co_ci_u32_e64 v24, s0, v6, v24, s0
	v_mul_f32_e32 v4, v8, v16
	v_mul_f32_e32 v8, v8, v15
	;; [unrolled: 1-line block ×4, first 2 shown]
	v_fmac_f32_e32 v4, v7, v15
	s_delay_alu instid0(VALU_DEP_4) | instskip(NEXT) | instid1(VALU_DEP_4)
	v_fma_f32 v7, v7, v16, -v8
	v_fmac_f32_e32 v32, v9, v17
	s_delay_alu instid0(VALU_DEP_4) | instskip(SKIP_4) | instid1(VALU_DEP_4)
	v_fma_f32 v8, v9, v18, -v10
	v_fma_f32 v10, v11, v20, -v12
	v_add_nc_u32_e32 v1, s4, v1
	v_dual_fmac_f32 v34, v13, v21 :: v_dual_sub_f32 v15, v7, v14
	v_dual_add_f32 v9, v4, v29 :: v_dual_add_f32 v20, v30, v7
	v_sub_f32_e32 v16, v8, v10
	s_delay_alu instid0(VALU_DEP_4) | instskip(SKIP_3) | instid1(VALU_DEP_3)
	v_lshlrev_b64_e32 v[25:26], 3, v[1:2]
	v_dual_sub_f32 v12, v4, v32 :: v_dual_add_nc_u32 v1, s4, v1
	v_sub_f32_e32 v13, v34, v33
	v_dual_add_f32 v11, v32, v33 :: v_dual_sub_f32 v36, v14, v10
	v_lshlrev_b64_e32 v[27:28], 3, v[1:2]
	v_dual_sub_f32 v18, v32, v4 :: v_dual_add_nc_u32 v1, s4, v1
	v_dual_sub_f32 v19, v33, v34 :: v_dual_sub_f32 v22, v32, v33
	v_dual_sub_f32 v35, v7, v8 :: v_dual_sub_f32 v38, v8, v7
	v_add_f32_e32 v17, v4, v34
	v_sub_f32_e32 v4, v4, v34
	v_add_f32_e32 v37, v7, v14
	v_dual_add_f32 v9, v9, v32 :: v_dual_add_f32 v32, v12, v13
	v_add_f32_e32 v21, v8, v10
	v_dual_sub_f32 v39, v10, v14 :: v_dual_add_f32 v12, v20, v8
	v_fma_f32 v7, -0.5, v11, v29
	v_fma_f32 v29, -0.5, v17, v29
	s_delay_alu instid0(VALU_DEP_4) | instskip(SKIP_3) | instid1(VALU_DEP_4)
	v_fma_f32 v8, -0.5, v21, v30
	v_dual_fmac_f32 v30, -0.5, v37 :: v_dual_add_f32 v17, v18, v19
	v_dual_add_f32 v20, v12, v10 :: v_dual_add_f32 v13, v9, v33
	v_fmamk_f32 v9, v15, 0xbf737871, v7
	v_dual_fmac_f32 v7, 0x3f737871, v15 :: v_dual_fmamk_f32 v10, v4, 0x3f737871, v8
	v_fmamk_f32 v11, v16, 0x3f737871, v29
	v_dual_fmac_f32 v29, 0xbf737871, v16 :: v_dual_fmamk_f32 v12, v22, 0xbf737871, v30
	v_dual_fmac_f32 v30, 0x3f737871, v22 :: v_dual_add_f32 v19, v38, v39
	v_fmac_f32_e32 v8, 0xbf737871, v4
	v_add_f32_e32 v18, v35, v36
	v_dual_fmac_f32 v7, 0x3f167918, v16 :: v_dual_fmac_f32 v10, 0x3f167918, v22
	v_dual_add_f32 v14, v20, v14 :: v_dual_fmac_f32 v9, 0xbf167918, v16
	s_delay_alu instid0(VALU_DEP_4) | instskip(SKIP_4) | instid1(VALU_DEP_4)
	v_fmac_f32_e32 v8, 0xbf167918, v22
	v_dual_add_f32 v13, v13, v34 :: v_dual_fmac_f32 v12, 0x3f167918, v4
	v_dual_fmac_f32 v11, 0xbf167918, v15 :: v_dual_fmac_f32 v30, 0xbf167918, v4
	v_fmac_f32_e32 v29, 0x3f167918, v15
	v_dual_fmac_f32 v9, 0x3e9e377a, v32 :: v_dual_fmac_f32 v10, 0x3e9e377a, v18
	v_dual_fmac_f32 v7, 0x3e9e377a, v32 :: v_dual_fmac_f32 v12, 0x3e9e377a, v19
	s_delay_alu instid0(VALU_DEP_4) | instskip(NEXT) | instid1(VALU_DEP_4)
	v_dual_fmac_f32 v11, 0x3e9e377a, v17 :: v_dual_fmac_f32 v30, 0x3e9e377a, v19
	v_dual_fmac_f32 v29, 0x3e9e377a, v17 :: v_dual_fmac_f32 v8, 0x3e9e377a, v18
	ds_store_2addr_b64 v3, v[13:14], v[9:10] offset1:25
	ds_store_2addr_b64 v3, v[11:12], v[29:30] offset0:50 offset1:75
	ds_store_b64 v3, v[7:8] offset:800
	global_wb scope:SCOPE_SE
	s_wait_dscnt 0x0
	s_barrier_signal -1
	s_barrier_wait -1
	global_inv scope:SCOPE_SE
	ds_load_b64 v[3:4], v31
	ds_load_2addr_b64 v[7:10], v0 offset0:25 offset1:50
	ds_load_2addr_b64 v[11:14], v0 offset0:75 offset1:100
	v_lshlrev_b64_e32 v[17:18], 3, v[1:2]
	v_add_nc_u32_e32 v1, s4, v1
	v_add_co_u32 v15, s0, v5, v25
	s_wait_alu 0xf1ff
	v_add_co_ci_u32_e64 v16, s0, v6, v26, s0
	v_add_co_u32 v19, s0, v5, v27
	v_lshlrev_b64_e32 v[21:22], 3, v[1:2]
	s_wait_alu 0xf1ff
	v_add_co_ci_u32_e64 v20, s0, v6, v28, s0
	v_add_co_u32 v17, s0, v5, v17
	s_wait_alu 0xf1ff
	v_add_co_ci_u32_e64 v18, s0, v6, v18, s0
	v_add_co_u32 v21, s0, v5, v21
	s_wait_alu 0xf1ff
	v_add_co_ci_u32_e64 v22, s0, v6, v22, s0
	s_wait_dscnt 0x2
	global_store_b64 v[23:24], v[3:4], off
	s_wait_dscnt 0x1
	s_clause 0x1
	global_store_b64 v[15:16], v[7:8], off
	global_store_b64 v[19:20], v[9:10], off
	s_wait_dscnt 0x0
	s_clause 0x1
	global_store_b64 v[17:18], v[11:12], off
	global_store_b64 v[21:22], v[13:14], off
	s_and_saveexec_b32 s0, vcc_lo
	s_cbranch_execz .LBB0_2
; %bb.1:
	ds_load_b64 v[3:4], v0 offset:1000
	v_add_nc_u32_e32 v1, s4, v1
	s_delay_alu instid0(VALU_DEP_1) | instskip(NEXT) | instid1(VALU_DEP_1)
	v_lshlrev_b64_e32 v[0:1], 3, v[1:2]
	v_add_co_u32 v0, vcc_lo, v5, v0
	s_wait_alu 0xfffd
	s_delay_alu instid0(VALU_DEP_2)
	v_add_co_ci_u32_e32 v1, vcc_lo, v6, v1, vcc_lo
	s_wait_dscnt 0x0
	global_store_b64 v[0:1], v[3:4], off
.LBB0_2:
	s_nop 0
	s_sendmsg sendmsg(MSG_DEALLOC_VGPRS)
	s_endpgm
	.section	.rodata,"a",@progbits
	.p2align	6, 0x0
	.amdhsa_kernel fft_rtc_back_len125_factors_5_5_5_wgs_250_tpt_25_sp_op_CI_CI_sbrc_erc_z_xy_aligned_dirReg
		.amdhsa_group_segment_fixed_size 0
		.amdhsa_private_segment_fixed_size 0
		.amdhsa_kernarg_size 104
		.amdhsa_user_sgpr_count 2
		.amdhsa_user_sgpr_dispatch_ptr 0
		.amdhsa_user_sgpr_queue_ptr 0
		.amdhsa_user_sgpr_kernarg_segment_ptr 1
		.amdhsa_user_sgpr_dispatch_id 0
		.amdhsa_user_sgpr_private_segment_size 0
		.amdhsa_wavefront_size32 1
		.amdhsa_uses_dynamic_stack 0
		.amdhsa_enable_private_segment 0
		.amdhsa_system_sgpr_workgroup_id_x 1
		.amdhsa_system_sgpr_workgroup_id_y 0
		.amdhsa_system_sgpr_workgroup_id_z 0
		.amdhsa_system_sgpr_workgroup_info 0
		.amdhsa_system_vgpr_workitem_id 0
		.amdhsa_next_free_vgpr 40
		.amdhsa_next_free_sgpr 23
		.amdhsa_reserve_vcc 1
		.amdhsa_float_round_mode_32 0
		.amdhsa_float_round_mode_16_64 0
		.amdhsa_float_denorm_mode_32 3
		.amdhsa_float_denorm_mode_16_64 3
		.amdhsa_fp16_overflow 0
		.amdhsa_workgroup_processor_mode 1
		.amdhsa_memory_ordered 1
		.amdhsa_forward_progress 0
		.amdhsa_round_robin_scheduling 0
		.amdhsa_exception_fp_ieee_invalid_op 0
		.amdhsa_exception_fp_denorm_src 0
		.amdhsa_exception_fp_ieee_div_zero 0
		.amdhsa_exception_fp_ieee_overflow 0
		.amdhsa_exception_fp_ieee_underflow 0
		.amdhsa_exception_fp_ieee_inexact 0
		.amdhsa_exception_int_div_zero 0
	.end_amdhsa_kernel
	.text
.Lfunc_end0:
	.size	fft_rtc_back_len125_factors_5_5_5_wgs_250_tpt_25_sp_op_CI_CI_sbrc_erc_z_xy_aligned_dirReg, .Lfunc_end0-fft_rtc_back_len125_factors_5_5_5_wgs_250_tpt_25_sp_op_CI_CI_sbrc_erc_z_xy_aligned_dirReg
                                        ; -- End function
	.section	.AMDGPU.csdata,"",@progbits
; Kernel info:
; codeLenInByte = 3208
; NumSgprs: 25
; NumVgprs: 40
; ScratchSize: 0
; MemoryBound: 0
; FloatMode: 240
; IeeeMode: 1
; LDSByteSize: 0 bytes/workgroup (compile time only)
; SGPRBlocks: 3
; VGPRBlocks: 4
; NumSGPRsForWavesPerEU: 25
; NumVGPRsForWavesPerEU: 40
; Occupancy: 16
; WaveLimiterHint : 1
; COMPUTE_PGM_RSRC2:SCRATCH_EN: 0
; COMPUTE_PGM_RSRC2:USER_SGPR: 2
; COMPUTE_PGM_RSRC2:TRAP_HANDLER: 0
; COMPUTE_PGM_RSRC2:TGID_X_EN: 1
; COMPUTE_PGM_RSRC2:TGID_Y_EN: 0
; COMPUTE_PGM_RSRC2:TGID_Z_EN: 0
; COMPUTE_PGM_RSRC2:TIDIG_COMP_CNT: 0
	.text
	.p2alignl 7, 3214868480
	.fill 96, 4, 3214868480
	.type	__hip_cuid_ae398a6aa83f2dec,@object ; @__hip_cuid_ae398a6aa83f2dec
	.section	.bss,"aw",@nobits
	.globl	__hip_cuid_ae398a6aa83f2dec
__hip_cuid_ae398a6aa83f2dec:
	.byte	0                               ; 0x0
	.size	__hip_cuid_ae398a6aa83f2dec, 1

	.ident	"AMD clang version 19.0.0git (https://github.com/RadeonOpenCompute/llvm-project roc-6.4.0 25133 c7fe45cf4b819c5991fe208aaa96edf142730f1d)"
	.section	".note.GNU-stack","",@progbits
	.addrsig
	.addrsig_sym __hip_cuid_ae398a6aa83f2dec
	.amdgpu_metadata
---
amdhsa.kernels:
  - .args:
      - .actual_access:  read_only
        .address_space:  global
        .offset:         0
        .size:           8
        .value_kind:     global_buffer
      - .offset:         8
        .size:           8
        .value_kind:     by_value
      - .actual_access:  read_only
        .address_space:  global
        .offset:         16
        .size:           8
        .value_kind:     global_buffer
      - .actual_access:  read_only
        .address_space:  global
        .offset:         24
        .size:           8
        .value_kind:     global_buffer
      - .actual_access:  read_only
        .address_space:  global
        .offset:         32
        .size:           8
        .value_kind:     global_buffer
      - .offset:         40
        .size:           8
        .value_kind:     by_value
      - .actual_access:  read_only
        .address_space:  global
        .offset:         48
        .size:           8
        .value_kind:     global_buffer
      - .actual_access:  read_only
        .address_space:  global
        .offset:         56
        .size:           8
        .value_kind:     global_buffer
      - .offset:         64
        .size:           4
        .value_kind:     by_value
      - .actual_access:  read_only
        .address_space:  global
        .offset:         72
        .size:           8
        .value_kind:     global_buffer
      - .actual_access:  read_only
        .address_space:  global
        .offset:         80
        .size:           8
        .value_kind:     global_buffer
      - .actual_access:  read_only
        .address_space:  global
        .offset:         88
        .size:           8
        .value_kind:     global_buffer
      - .actual_access:  write_only
        .address_space:  global
        .offset:         96
        .size:           8
        .value_kind:     global_buffer
    .group_segment_fixed_size: 0
    .kernarg_segment_align: 8
    .kernarg_segment_size: 104
    .language:       OpenCL C
    .language_version:
      - 2
      - 0
    .max_flat_workgroup_size: 250
    .name:           fft_rtc_back_len125_factors_5_5_5_wgs_250_tpt_25_sp_op_CI_CI_sbrc_erc_z_xy_aligned_dirReg
    .private_segment_fixed_size: 0
    .sgpr_count:     25
    .sgpr_spill_count: 0
    .symbol:         fft_rtc_back_len125_factors_5_5_5_wgs_250_tpt_25_sp_op_CI_CI_sbrc_erc_z_xy_aligned_dirReg.kd
    .uniform_work_group_size: 1
    .uses_dynamic_stack: false
    .vgpr_count:     40
    .vgpr_spill_count: 0
    .wavefront_size: 32
    .workgroup_processor_mode: 1
amdhsa.target:   amdgcn-amd-amdhsa--gfx1201
amdhsa.version:
  - 1
  - 2
...

	.end_amdgpu_metadata
